;; amdgpu-corpus repo=ROCm/rocFFT kind=compiled arch=gfx906 opt=O3
	.text
	.amdgcn_target "amdgcn-amd-amdhsa--gfx906"
	.amdhsa_code_object_version 6
	.protected	fft_rtc_fwd_len1600_factors_10_16_10_wgs_200_tpt_100_halfLds_half_op_CI_CI_unitstride_sbrr_C2R_dirReg ; -- Begin function fft_rtc_fwd_len1600_factors_10_16_10_wgs_200_tpt_100_halfLds_half_op_CI_CI_unitstride_sbrr_C2R_dirReg
	.globl	fft_rtc_fwd_len1600_factors_10_16_10_wgs_200_tpt_100_halfLds_half_op_CI_CI_unitstride_sbrr_C2R_dirReg
	.p2align	8
	.type	fft_rtc_fwd_len1600_factors_10_16_10_wgs_200_tpt_100_halfLds_half_op_CI_CI_unitstride_sbrr_C2R_dirReg,@function
fft_rtc_fwd_len1600_factors_10_16_10_wgs_200_tpt_100_halfLds_half_op_CI_CI_unitstride_sbrr_C2R_dirReg: ; @fft_rtc_fwd_len1600_factors_10_16_10_wgs_200_tpt_100_halfLds_half_op_CI_CI_unitstride_sbrr_C2R_dirReg
; %bb.0:
	s_load_dwordx4 s[8:11], s[4:5], 0x58
	s_load_dwordx4 s[12:15], s[4:5], 0x0
	;; [unrolled: 1-line block ×3, first 2 shown]
	v_mul_u32_u24_e32 v1, 0x290, v0
	v_lshrrev_b32_e32 v11, 16, v1
	v_mov_b32_e32 v3, 0
	s_waitcnt lgkmcnt(0)
	v_cmp_lt_u64_e64 s[0:1], s[14:15], 2
	v_mov_b32_e32 v7, 0
	v_lshl_add_u32 v9, s6, 1, v11
	v_mov_b32_e32 v10, v3
	s_and_b64 vcc, exec, s[0:1]
	v_mov_b32_e32 v8, 0
	s_cbranch_vccnz .LBB0_8
; %bb.1:
	s_load_dwordx2 s[0:1], s[4:5], 0x10
	s_add_u32 s2, s18, 8
	s_addc_u32 s3, s19, 0
	s_add_u32 s6, s16, 8
	s_addc_u32 s7, s17, 0
	v_mov_b32_e32 v7, 0
	s_waitcnt lgkmcnt(0)
	s_add_u32 s20, s0, 8
	v_mov_b32_e32 v8, 0
	v_mov_b32_e32 v1, v7
	s_addc_u32 s21, s1, 0
	s_mov_b64 s[22:23], 1
	v_mov_b32_e32 v2, v8
.LBB0_2:                                ; =>This Inner Loop Header: Depth=1
	s_load_dwordx2 s[24:25], s[20:21], 0x0
                                        ; implicit-def: $vgpr5_vgpr6
	s_waitcnt lgkmcnt(0)
	v_or_b32_e32 v4, s25, v10
	v_cmp_ne_u64_e32 vcc, 0, v[3:4]
	s_and_saveexec_b64 s[0:1], vcc
	s_xor_b64 s[26:27], exec, s[0:1]
	s_cbranch_execz .LBB0_4
; %bb.3:                                ;   in Loop: Header=BB0_2 Depth=1
	v_cvt_f32_u32_e32 v4, s24
	v_cvt_f32_u32_e32 v5, s25
	s_sub_u32 s0, 0, s24
	s_subb_u32 s1, 0, s25
	v_mac_f32_e32 v4, 0x4f800000, v5
	v_rcp_f32_e32 v4, v4
	v_mul_f32_e32 v4, 0x5f7ffffc, v4
	v_mul_f32_e32 v5, 0x2f800000, v4
	v_trunc_f32_e32 v5, v5
	v_mac_f32_e32 v4, 0xcf800000, v5
	v_cvt_u32_f32_e32 v5, v5
	v_cvt_u32_f32_e32 v4, v4
	v_mul_lo_u32 v6, s0, v5
	v_mul_hi_u32 v12, s0, v4
	v_mul_lo_u32 v14, s1, v4
	v_mul_lo_u32 v13, s0, v4
	v_add_u32_e32 v6, v12, v6
	v_add_u32_e32 v6, v6, v14
	v_mul_hi_u32 v12, v4, v13
	v_mul_lo_u32 v14, v4, v6
	v_mul_hi_u32 v16, v4, v6
	v_mul_hi_u32 v15, v5, v13
	v_mul_lo_u32 v13, v5, v13
	v_mul_hi_u32 v17, v5, v6
	v_add_co_u32_e32 v12, vcc, v12, v14
	v_addc_co_u32_e32 v14, vcc, 0, v16, vcc
	v_mul_lo_u32 v6, v5, v6
	v_add_co_u32_e32 v12, vcc, v12, v13
	v_addc_co_u32_e32 v12, vcc, v14, v15, vcc
	v_addc_co_u32_e32 v13, vcc, 0, v17, vcc
	v_add_co_u32_e32 v6, vcc, v12, v6
	v_addc_co_u32_e32 v12, vcc, 0, v13, vcc
	v_add_co_u32_e32 v4, vcc, v4, v6
	v_addc_co_u32_e32 v5, vcc, v5, v12, vcc
	v_mul_lo_u32 v6, s0, v5
	v_mul_hi_u32 v12, s0, v4
	v_mul_lo_u32 v13, s1, v4
	v_mul_lo_u32 v14, s0, v4
	v_add_u32_e32 v6, v12, v6
	v_add_u32_e32 v6, v6, v13
	v_mul_lo_u32 v15, v4, v6
	v_mul_hi_u32 v16, v4, v14
	v_mul_hi_u32 v17, v4, v6
	;; [unrolled: 1-line block ×3, first 2 shown]
	v_mul_lo_u32 v14, v5, v14
	v_mul_hi_u32 v12, v5, v6
	v_add_co_u32_e32 v15, vcc, v16, v15
	v_addc_co_u32_e32 v16, vcc, 0, v17, vcc
	v_mul_lo_u32 v6, v5, v6
	v_add_co_u32_e32 v14, vcc, v15, v14
	v_addc_co_u32_e32 v13, vcc, v16, v13, vcc
	v_addc_co_u32_e32 v12, vcc, 0, v12, vcc
	v_add_co_u32_e32 v6, vcc, v13, v6
	v_addc_co_u32_e32 v12, vcc, 0, v12, vcc
	v_add_co_u32_e32 v6, vcc, v4, v6
	v_addc_co_u32_e32 v12, vcc, v5, v12, vcc
	v_mad_u64_u32 v[4:5], s[0:1], v9, v12, 0
	v_mul_hi_u32 v13, v9, v6
	v_add_co_u32_e32 v14, vcc, v13, v4
	v_addc_co_u32_e32 v15, vcc, 0, v5, vcc
	v_mad_u64_u32 v[4:5], s[0:1], v10, v6, 0
	v_mad_u64_u32 v[12:13], s[0:1], v10, v12, 0
	v_add_co_u32_e32 v4, vcc, v14, v4
	v_addc_co_u32_e32 v4, vcc, v15, v5, vcc
	v_addc_co_u32_e32 v5, vcc, 0, v13, vcc
	v_add_co_u32_e32 v12, vcc, v4, v12
	v_addc_co_u32_e32 v6, vcc, 0, v5, vcc
	v_mul_lo_u32 v13, s25, v12
	v_mul_lo_u32 v14, s24, v6
	v_mad_u64_u32 v[4:5], s[0:1], s24, v12, 0
	v_add3_u32 v5, v5, v14, v13
	v_sub_u32_e32 v13, v10, v5
	v_mov_b32_e32 v14, s25
	v_sub_co_u32_e32 v4, vcc, v9, v4
	v_subb_co_u32_e64 v13, s[0:1], v13, v14, vcc
	v_subrev_co_u32_e64 v14, s[0:1], s24, v4
	v_subbrev_co_u32_e64 v13, s[0:1], 0, v13, s[0:1]
	v_cmp_le_u32_e64 s[0:1], s25, v13
	v_cndmask_b32_e64 v15, 0, -1, s[0:1]
	v_cmp_le_u32_e64 s[0:1], s24, v14
	v_cndmask_b32_e64 v14, 0, -1, s[0:1]
	v_cmp_eq_u32_e64 s[0:1], s25, v13
	v_cndmask_b32_e64 v13, v15, v14, s[0:1]
	v_add_co_u32_e64 v14, s[0:1], 2, v12
	v_addc_co_u32_e64 v15, s[0:1], 0, v6, s[0:1]
	v_add_co_u32_e64 v16, s[0:1], 1, v12
	v_addc_co_u32_e64 v17, s[0:1], 0, v6, s[0:1]
	v_subb_co_u32_e32 v5, vcc, v10, v5, vcc
	v_cmp_ne_u32_e64 s[0:1], 0, v13
	v_cmp_le_u32_e32 vcc, s25, v5
	v_cndmask_b32_e64 v13, v17, v15, s[0:1]
	v_cndmask_b32_e64 v15, 0, -1, vcc
	v_cmp_le_u32_e32 vcc, s24, v4
	v_cndmask_b32_e64 v4, 0, -1, vcc
	v_cmp_eq_u32_e32 vcc, s25, v5
	v_cndmask_b32_e32 v4, v15, v4, vcc
	v_cmp_ne_u32_e32 vcc, 0, v4
	v_cndmask_b32_e64 v4, v16, v14, s[0:1]
	v_cndmask_b32_e32 v6, v6, v13, vcc
	v_cndmask_b32_e32 v5, v12, v4, vcc
.LBB0_4:                                ;   in Loop: Header=BB0_2 Depth=1
	s_andn2_saveexec_b64 s[0:1], s[26:27]
	s_cbranch_execz .LBB0_6
; %bb.5:                                ;   in Loop: Header=BB0_2 Depth=1
	v_cvt_f32_u32_e32 v4, s24
	s_sub_i32 s26, 0, s24
	v_rcp_iflag_f32_e32 v4, v4
	v_mul_f32_e32 v4, 0x4f7ffffe, v4
	v_cvt_u32_f32_e32 v4, v4
	v_mul_lo_u32 v5, s26, v4
	v_mul_hi_u32 v5, v4, v5
	v_add_u32_e32 v4, v4, v5
	v_mul_hi_u32 v4, v9, v4
	v_mul_lo_u32 v5, v4, s24
	v_add_u32_e32 v6, 1, v4
	v_sub_u32_e32 v5, v9, v5
	v_subrev_u32_e32 v12, s24, v5
	v_cmp_le_u32_e32 vcc, s24, v5
	v_cndmask_b32_e32 v5, v5, v12, vcc
	v_cndmask_b32_e32 v4, v4, v6, vcc
	v_add_u32_e32 v6, 1, v4
	v_cmp_le_u32_e32 vcc, s24, v5
	v_cndmask_b32_e32 v5, v4, v6, vcc
	v_mov_b32_e32 v6, v3
.LBB0_6:                                ;   in Loop: Header=BB0_2 Depth=1
	s_or_b64 exec, exec, s[0:1]
	v_mul_lo_u32 v4, v6, s24
	v_mul_lo_u32 v14, v5, s25
	v_mad_u64_u32 v[12:13], s[0:1], v5, s24, 0
	s_load_dwordx2 s[0:1], s[6:7], 0x0
	s_load_dwordx2 s[24:25], s[2:3], 0x0
	v_add3_u32 v4, v13, v14, v4
	v_sub_co_u32_e32 v9, vcc, v9, v12
	v_subb_co_u32_e32 v4, vcc, v10, v4, vcc
	s_waitcnt lgkmcnt(0)
	v_mul_lo_u32 v10, s0, v4
	v_mul_lo_u32 v12, s1, v9
	v_mad_u64_u32 v[7:8], s[0:1], s0, v9, v[7:8]
	s_add_u32 s22, s22, 1
	s_addc_u32 s23, s23, 0
	s_add_u32 s2, s2, 8
	v_mul_lo_u32 v4, s24, v4
	v_mul_lo_u32 v13, s25, v9
	v_mad_u64_u32 v[1:2], s[0:1], s24, v9, v[1:2]
	v_add3_u32 v8, v12, v8, v10
	s_addc_u32 s3, s3, 0
	v_mov_b32_e32 v9, s14
	s_add_u32 s6, s6, 8
	v_mov_b32_e32 v10, s15
	s_addc_u32 s7, s7, 0
	v_cmp_ge_u64_e32 vcc, s[22:23], v[9:10]
	s_add_u32 s20, s20, 8
	v_add3_u32 v2, v13, v2, v4
	s_addc_u32 s21, s21, 0
	s_cbranch_vccnz .LBB0_9
; %bb.7:                                ;   in Loop: Header=BB0_2 Depth=1
	v_mov_b32_e32 v10, v6
	v_mov_b32_e32 v9, v5
	s_branch .LBB0_2
.LBB0_8:
	v_mov_b32_e32 v1, v7
	v_mov_b32_e32 v5, v9
	;; [unrolled: 1-line block ×4, first 2 shown]
.LBB0_9:
	s_load_dwordx2 s[2:3], s[4:5], 0x28
	s_lshl_b64 s[6:7], s[14:15], 3
	s_add_u32 s14, s18, s6
	v_and_b32_e32 v3, 1, v11
	s_addc_u32 s15, s19, s7
	s_waitcnt lgkmcnt(0)
	v_cmp_gt_u64_e64 s[0:1], s[2:3], v[5:6]
	v_cmp_le_u64_e64 s[2:3], s[2:3], v[5:6]
	v_cmp_eq_u32_e32 vcc, 1, v3
	v_mov_b32_e32 v4, 0x641
                                        ; implicit-def: $vgpr3
	s_and_saveexec_b64 s[4:5], s[2:3]
	s_xor_b64 s[2:3], exec, s[4:5]
; %bb.10:
	s_mov_b32 s4, 0x28f5c29
	v_mul_hi_u32 v3, v0, s4
                                        ; implicit-def: $vgpr7_vgpr8
	v_mul_u32_u24_e32 v3, 0x64, v3
	v_sub_u32_e32 v3, v0, v3
                                        ; implicit-def: $vgpr0
; %bb.11:
	s_or_saveexec_b64 s[4:5], s[2:3]
	s_load_dwordx2 s[2:3], s[14:15], 0x0
	v_cndmask_b32_e32 v32, 0, v4, vcc
	v_lshlrev_b32_e32 v29, 2, v32
	s_xor_b64 exec, exec, s[4:5]
	s_cbranch_execz .LBB0_15
; %bb.12:
	s_add_u32 s6, s16, s6
	s_addc_u32 s7, s17, s7
	s_load_dwordx2 s[6:7], s[6:7], 0x0
	s_mov_b32 s14, 0x28f5c29
	v_mul_hi_u32 v3, v0, s14
	v_lshlrev_b64 v[7:8], 2, v[7:8]
	s_waitcnt lgkmcnt(0)
	v_mul_lo_u32 v4, s7, v5
	v_mul_lo_u32 v11, s6, v6
	v_mad_u64_u32 v[9:10], s[6:7], s6, v5, 0
	v_mul_u32_u24_e32 v3, 0x64, v3
	v_sub_u32_e32 v3, v0, v3
	v_add3_u32 v10, v10, v11, v4
	v_lshlrev_b64 v[9:10], 2, v[9:10]
	v_mov_b32_e32 v0, s9
	v_add_co_u32_e32 v4, vcc, s8, v9
	v_addc_co_u32_e32 v0, vcc, v0, v10, vcc
	v_add_co_u32_e32 v4, vcc, v4, v7
	v_addc_co_u32_e32 v0, vcc, v0, v8, vcc
	v_lshlrev_b32_e32 v11, 2, v3
	v_add_co_u32_e32 v7, vcc, v4, v11
	v_addc_co_u32_e32 v8, vcc, 0, v0, vcc
	s_movk_i32 s6, 0x1000
	v_add_co_u32_e32 v9, vcc, s6, v7
	global_load_dword v12, v[7:8], off offset:1200
	global_load_dword v13, v[7:8], off offset:1600
	global_load_dword v14, v[7:8], off offset:2000
	global_load_dword v15, v[7:8], off offset:2400
	global_load_dword v16, v[7:8], off offset:2800
	global_load_dword v17, v[7:8], off
	global_load_dword v18, v[7:8], off offset:800
	global_load_dword v19, v[7:8], off offset:400
	v_addc_co_u32_e32 v10, vcc, 0, v8, vcc
	global_load_dword v20, v[7:8], off offset:3200
	global_load_dword v21, v[7:8], off offset:3600
	;; [unrolled: 1-line block ×8, first 2 shown]
	s_movk_i32 s6, 0x63
	v_add3_u32 v7, 0, v29, v11
	v_add_u32_e32 v8, 0x200, v7
	v_cmp_eq_u32_e32 vcc, s6, v3
	v_add_u32_e32 v9, 0x400, v7
	v_add_u32_e32 v10, 0x800, v7
	;; [unrolled: 1-line block ×6, first 2 shown]
	s_waitcnt vmcnt(9)
	ds_write2_b32 v8, v18, v12 offset0:72 offset1:172
	ds_write2_b32 v9, v13, v14 offset0:144 offset1:244
	ds_write2_b32 v10, v15, v16 offset0:88 offset1:188
	s_waitcnt vmcnt(8)
	ds_write2_b32 v7, v17, v19 offset1:100
	s_waitcnt vmcnt(6)
	ds_write2_b32 v11, v20, v21 offset0:32 offset1:132
	s_waitcnt vmcnt(4)
	ds_write2_b32 v28, v22, v23 offset0:104 offset1:204
	;; [unrolled: 2-line block ×4, first 2 shown]
	s_and_saveexec_b64 s[6:7], vcc
	s_cbranch_execz .LBB0_14
; %bb.13:
	v_add_co_u32_e32 v3, vcc, 0x1000, v4
	v_addc_co_u32_e32 v4, vcc, 0, v0, vcc
	global_load_dword v0, v[3:4], off offset:2304
	v_mov_b32_e32 v3, 0x63
	s_waitcnt vmcnt(0)
	ds_write_b32 v7, v0 offset:6004
.LBB0_14:
	s_or_b64 exec, exec, s[6:7]
.LBB0_15:
	s_or_b64 exec, exec, s[4:5]
	v_lshl_add_u32 v0, v32, 2, 0
	v_lshlrev_b32_e32 v9, 2, v3
	v_add_u32_e32 v30, v0, v9
	s_waitcnt lgkmcnt(0)
	s_barrier
	v_sub_u32_e32 v10, v0, v9
	ds_read_u16 v13, v30
	ds_read_u16 v14, v10 offset:6400
	s_add_u32 s6, s12, 0x18d8
	s_addc_u32 s7, s13, 0
	v_cmp_ne_u32_e32 vcc, 0, v3
                                        ; implicit-def: $vgpr7_vgpr8
	s_waitcnt lgkmcnt(0)
	v_add_f16_e32 v11, v14, v13
	v_sub_f16_e32 v12, v13, v14
	s_and_saveexec_b64 s[4:5], vcc
	s_xor_b64 s[4:5], exec, s[4:5]
	s_cbranch_execz .LBB0_17
; %bb.16:
	v_mov_b32_e32 v4, 0
	v_lshlrev_b64 v[7:8], 2, v[3:4]
	v_mov_b32_e32 v11, s7
	v_add_co_u32_e32 v7, vcc, s6, v7
	v_addc_co_u32_e32 v8, vcc, v11, v8, vcc
	global_load_dword v7, v[7:8], off
	ds_read_u16 v8, v10 offset:6402
	ds_read_u16 v11, v30 offset:2
	v_add_f16_e32 v12, v14, v13
	v_sub_f16_e32 v13, v13, v14
	s_waitcnt lgkmcnt(0)
	v_add_f16_e32 v14, v8, v11
	v_sub_f16_e32 v8, v11, v8
	s_waitcnt vmcnt(0)
	v_lshrrev_b32_e32 v11, 16, v7
	v_fma_f16 v15, v13, v11, v12
	v_fma_f16 v16, v14, v11, v8
	v_fma_f16 v17, -v13, v11, v12
	v_fma_f16 v8, v14, v11, -v8
	v_fma_f16 v11, -v7, v14, v15
	v_fma_f16 v12, v13, v7, v16
	v_fma_f16 v14, v7, v14, v17
	;; [unrolled: 1-line block ×3, first 2 shown]
	v_pack_b32_f16 v7, v14, v7
	ds_write_b32 v10, v7 offset:6400
	v_mov_b32_e32 v8, v4
	v_mov_b32_e32 v7, v3
.LBB0_17:
	s_andn2_saveexec_b64 s[4:5], s[4:5]
	s_cbranch_execz .LBB0_19
; %bb.18:
	ds_read_b32 v4, v0 offset:3200
	s_mov_b32 s8, 0xc0004000
	v_mov_b32_e32 v7, 0
	v_mov_b32_e32 v8, 0
	s_waitcnt lgkmcnt(0)
	v_pk_mul_f16 v4, v4, s8
	ds_write_b32 v0, v4 offset:3200
.LBB0_19:
	s_or_b64 exec, exec, s[4:5]
	v_lshlrev_b64 v[7:8], 2, v[7:8]
	v_mov_b32_e32 v4, s7
	v_add_co_u32_e32 v7, vcc, s6, v7
	v_addc_co_u32_e32 v8, vcc, v4, v8, vcc
	global_load_dword v4, v[7:8], off offset:400
	global_load_dword v13, v[7:8], off offset:800
	;; [unrolled: 1-line block ×4, first 2 shown]
	s_mov_b32 s6, 0x5040100
	v_perm_b32 v11, v12, v11, s6
	ds_write_b32 v30, v11
	ds_read_b32 v11, v30 offset:400
	ds_read_b32 v12, v10 offset:6000
	global_load_dword v16, v[7:8], off offset:2000
	global_load_dword v17, v[7:8], off offset:2400
	;; [unrolled: 1-line block ×3, first 2 shown]
	s_movk_i32 s5, 0x3b9c
	s_movk_i32 s4, 0x38b4
	s_mov_b32 s9, 0xbb9c
	s_waitcnt lgkmcnt(0)
	v_add_f16_e32 v7, v11, v12
	v_add_f16_sdwa v8, v12, v11 dst_sel:DWORD dst_unused:UNUSED_PAD src0_sel:WORD_1 src1_sel:WORD_1
	v_sub_f16_e32 v19, v11, v12
	v_sub_f16_sdwa v11, v11, v12 dst_sel:DWORD dst_unused:UNUSED_PAD src0_sel:WORD_1 src1_sel:WORD_1
	s_movk_i32 s8, 0x34f2
	s_mov_b32 s7, 0xb8b4
	s_movk_i32 s14, 0x3a79
	v_cmp_gt_u32_e32 vcc, 60, v3
	s_waitcnt vmcnt(6)
	v_lshrrev_b32_e32 v12, 16, v4
	v_fma_f16 v20, v19, v12, v7
	v_fma_f16 v21, v8, v12, v11
	v_fma_f16 v7, -v19, v12, v7
	v_fma_f16 v11, v8, v12, -v11
	v_fma_f16 v12, -v4, v8, v20
	v_fma_f16 v20, v19, v4, v21
	v_fma_f16 v7, v4, v8, v7
	v_fma_f16 v4, v19, v4, v11
	v_pack_b32_f16 v8, v12, v20
	v_pack_b32_f16 v4, v7, v4
	ds_write_b32 v30, v8 offset:400
	ds_write_b32 v10, v4 offset:6000
	ds_read_b32 v4, v30 offset:800
	ds_read_b32 v7, v10 offset:5600
	s_waitcnt vmcnt(5)
	v_lshrrev_b32_e32 v8, 16, v13
	s_waitcnt lgkmcnt(0)
	v_add_f16_e32 v11, v4, v7
	v_add_f16_sdwa v12, v7, v4 dst_sel:DWORD dst_unused:UNUSED_PAD src0_sel:WORD_1 src1_sel:WORD_1
	v_sub_f16_e32 v19, v4, v7
	v_sub_f16_sdwa v4, v4, v7 dst_sel:DWORD dst_unused:UNUSED_PAD src0_sel:WORD_1 src1_sel:WORD_1
	v_fma_f16 v7, v19, v8, v11
	v_fma_f16 v20, v12, v8, v4
	v_fma_f16 v11, -v19, v8, v11
	v_fma_f16 v4, v12, v8, -v4
	v_fma_f16 v7, -v13, v12, v7
	v_fma_f16 v8, v19, v13, v20
	v_fma_f16 v11, v13, v12, v11
	v_fma_f16 v4, v19, v13, v4
	v_pack_b32_f16 v7, v7, v8
	v_pack_b32_f16 v4, v11, v4
	ds_write_b32 v30, v7 offset:800
	ds_write_b32 v10, v4 offset:5600
	ds_read_b32 v4, v30 offset:1200
	ds_read_b32 v7, v10 offset:5200
	s_waitcnt vmcnt(4)
	v_lshrrev_b32_e32 v8, 16, v14
	s_waitcnt lgkmcnt(0)
	v_add_f16_e32 v11, v4, v7
	v_add_f16_sdwa v12, v7, v4 dst_sel:DWORD dst_unused:UNUSED_PAD src0_sel:WORD_1 src1_sel:WORD_1
	v_sub_f16_e32 v13, v4, v7
	v_sub_f16_sdwa v4, v4, v7 dst_sel:DWORD dst_unused:UNUSED_PAD src0_sel:WORD_1 src1_sel:WORD_1
	;; [unrolled: 21-line block ×6, first 2 shown]
	v_fma_f16 v7, v13, v8, v11
	v_fma_f16 v14, v12, v8, v4
	v_fma_f16 v11, -v13, v8, v11
	v_fma_f16 v4, v12, v8, -v4
	v_fma_f16 v7, -v18, v12, v7
	v_fma_f16 v8, v13, v18, v14
	v_fma_f16 v11, v18, v12, v11
	;; [unrolled: 1-line block ×3, first 2 shown]
	v_pack_b32_f16 v7, v7, v8
	v_pack_b32_f16 v4, v11, v4
	ds_write_b32 v30, v7 offset:2800
	ds_write_b32 v10, v4 offset:3600
	v_add3_u32 v4, 0, v9, v29
	v_add_u32_e32 v35, 0x400, v4
	v_add_u32_e32 v31, 0xc00, v4
	;; [unrolled: 1-line block ×3, first 2 shown]
	s_waitcnt lgkmcnt(0)
	s_barrier
	s_barrier
	ds_read2_b32 v[11:12], v35 offset0:4 offset1:64
	v_add_u32_e32 v7, 0x800, v4
	ds_read2_b32 v[13:14], v31 offset0:132 offset1:192
	ds_read2_b32 v[15:16], v8 offset0:68 offset1:128
	;; [unrolled: 1-line block ×3, first 2 shown]
	v_add_u32_e32 v36, 0x1000, v4
	v_add_u32_e32 v37, 0xa00, v4
	;; [unrolled: 1-line block ×3, first 2 shown]
	ds_read2_b32 v[19:20], v36 offset0:36 offset1:96
	ds_read2_b32 v[21:22], v38 offset0:100 offset1:160
	;; [unrolled: 1-line block ×4, first 2 shown]
	s_waitcnt lgkmcnt(5)
	v_sub_f16_e32 v7, v16, v14
	s_waitcnt lgkmcnt(4)
	v_sub_f16_e32 v8, v12, v18
	v_add_f16_e32 v7, v8, v7
	v_sub_f16_sdwa v8, v12, v18 dst_sel:DWORD dst_unused:UNUSED_PAD src0_sel:WORD_1 src1_sel:WORD_1
	v_sub_f16_sdwa v9, v16, v14 dst_sel:DWORD dst_unused:UNUSED_PAD src0_sel:WORD_1 src1_sel:WORD_1
	v_add_f16_e32 v8, v8, v9
	s_waitcnt lgkmcnt(2)
	v_sub_f16_e32 v9, v22, v20
	s_waitcnt lgkmcnt(0)
	v_sub_f16_e32 v10, v26, v24
	v_add_f16_e32 v9, v10, v9
	v_sub_f16_sdwa v10, v26, v24 dst_sel:DWORD dst_unused:UNUSED_PAD src0_sel:WORD_1 src1_sel:WORD_1
	v_sub_f16_sdwa v27, v22, v20 dst_sel:DWORD dst_unused:UNUSED_PAD src0_sel:WORD_1 src1_sel:WORD_1
	v_add_f16_e32 v10, v10, v27
	ds_read2_b32 v[27:28], v4 offset0:100 offset1:160
	v_add_f16_e32 v33, v24, v20
	v_sub_f16_sdwa v34, v26, v22 dst_sel:DWORD dst_unused:UNUSED_PAD src0_sel:WORD_1 src1_sel:WORD_1
	v_add_f16_sdwa v40, v24, v20 dst_sel:DWORD dst_unused:UNUSED_PAD src0_sel:WORD_1 src1_sel:WORD_1
	v_sub_f16_sdwa v41, v24, v20 dst_sel:DWORD dst_unused:UNUSED_PAD src0_sel:WORD_1 src1_sel:WORD_1
	s_waitcnt lgkmcnt(0)
	v_fma_f16 v33, v33, -0.5, v28
	v_lshrrev_b32_e32 v42, 16, v28
	v_fma_f16 v39, v34, s5, v33
	v_fma_f16 v43, v40, -0.5, v42
	v_sub_f16_e32 v44, v26, v22
	ds_read_b32 v47, v30
	v_fma_f16 v39, v41, s4, v39
	v_fma_f16 v40, v44, s9, v43
	v_sub_f16_e32 v45, v24, v20
	v_fma_f16 v39, v9, s8, v39
	v_fma_f16 v40, v45, s7, v40
	;; [unrolled: 1-line block ×3, first 2 shown]
	v_mul_f16_e32 v46, 0x3a79, v39
	v_mul_f16_e32 v39, 0xb8b4, v39
	v_fma_f16 v46, v40, s4, v46
	v_fma_f16 v48, v40, s14, v39
	ds_read_b32 v39, v4 offset:6160
	v_add_f16_e32 v40, v18, v14
	s_waitcnt lgkmcnt(1)
	v_fma_f16 v49, v40, -0.5, v47
	v_sub_f16_sdwa v50, v12, v16 dst_sel:DWORD dst_unused:UNUSED_PAD src0_sel:WORD_1 src1_sel:WORD_1
	v_fma_f16 v40, v50, s5, v49
	v_sub_f16_sdwa v51, v18, v14 dst_sel:DWORD dst_unused:UNUSED_PAD src0_sel:WORD_1 src1_sel:WORD_1
	v_fma_f16 v40, v51, s4, v40
	v_fma_f16 v52, v7, s8, v40
	v_add_f16_sdwa v40, v18, v14 dst_sel:DWORD dst_unused:UNUSED_PAD src0_sel:WORD_1 src1_sel:WORD_1
	v_lshrrev_b32_e32 v53, 16, v47
	v_fma_f16 v54, v40, -0.5, v53
	v_sub_f16_e32 v55, v12, v16
	v_fma_f16 v40, v55, s9, v54
	v_sub_f16_e32 v56, v18, v14
	v_fma_f16 v40, v56, s7, v40
	v_fma_f16 v57, v8, s8, v40
	v_pk_add_f16 v59, v47, v12
	v_pk_add_f16 v60, v28, v26
	v_add_f16_e32 v40, v52, v46
	v_add_f16_e32 v58, v57, v48
	v_pk_add_f16 v59, v59, v18
	v_pk_add_f16 v60, v60, v24
	v_pack_b32_f16 v58, v40, v58
	v_mul_u32_u24_e32 v40, 10, v3
	v_pk_add_f16 v59, v59, v14
	v_pk_add_f16 v60, v60, v20
	v_lshl_add_u32 v40, v40, 2, 0
	v_pk_add_f16 v59, v59, v16
	v_pk_add_f16 v60, v60, v22
	v_add_u32_e32 v61, v40, v29
	v_pk_add_f16 v62, v59, v60
	s_waitcnt lgkmcnt(0)
	s_barrier
	ds_write2_b32 v61, v62, v58 offset1:1
	v_add_f16_e32 v58, v12, v16
	v_fma_f16 v47, v58, -0.5, v47
	v_sub_f16_e32 v58, v14, v16
	v_sub_f16_e32 v62, v18, v12
	v_add_f16_e32 v58, v62, v58
	v_fma_f16 v62, v51, s9, v47
	v_fma_f16 v47, v51, s5, v47
	;; [unrolled: 1-line block ×6, first 2 shown]
	v_add_f16_sdwa v58, v12, v16 dst_sel:DWORD dst_unused:UNUSED_PAD src0_sel:WORD_1 src1_sel:WORD_1
	v_fma_f16 v53, v58, -0.5, v53
	v_sub_f16_sdwa v12, v18, v12 dst_sel:DWORD dst_unused:UNUSED_PAD src0_sel:WORD_1 src1_sel:WORD_1
	v_sub_f16_sdwa v14, v14, v16 dst_sel:DWORD dst_unused:UNUSED_PAD src0_sel:WORD_1 src1_sel:WORD_1
	v_add_f16_e32 v12, v12, v14
	v_fma_f16 v14, v56, s5, v53
	v_fma_f16 v16, v56, s9, v53
	;; [unrolled: 1-line block ×6, first 2 shown]
	v_sub_f16_e32 v16, v20, v22
	v_sub_f16_e32 v18, v24, v26
	v_add_f16_e32 v16, v18, v16
	v_add_f16_e32 v18, v26, v22
	v_fma_f16 v18, v18, -0.5, v28
	v_fma_f16 v28, v41, s9, v18
	v_fma_f16 v18, v41, s5, v18
	;; [unrolled: 1-line block ×6, first 2 shown]
	v_add_f16_sdwa v18, v26, v22 dst_sel:DWORD dst_unused:UNUSED_PAD src0_sel:WORD_1 src1_sel:WORD_1
	v_fma_f16 v18, v18, -0.5, v42
	v_sub_f16_sdwa v24, v24, v26 dst_sel:DWORD dst_unused:UNUSED_PAD src0_sel:WORD_1 src1_sel:WORD_1
	v_sub_f16_sdwa v20, v20, v22 dst_sel:DWORD dst_unused:UNUSED_PAD src0_sel:WORD_1 src1_sel:WORD_1
	v_fma_f16 v22, v45, s5, v18
	v_add_f16_e32 v20, v24, v20
	v_fma_f16 v22, v44, s7, v22
	v_fma_f16 v18, v45, s9, v18
	;; [unrolled: 1-line block ×4, first 2 shown]
	v_mul_f16_e32 v24, 0xbb9c, v28
	v_fma_f16 v18, v20, s8, v18
	v_mul_f16_e32 v20, 0x3b9c, v22
	v_fma_f16 v22, v22, s8, v24
	v_mul_f16_e32 v24, 0x34f2, v16
	v_fma_f16 v24, v18, s5, -v24
	v_mul_f16_e32 v18, 0x34f2, v18
	v_fma_f16 v16, v16, s9, -v18
	v_fma_f16 v20, v28, s8, v20
	v_add_f16_e32 v18, v47, v24
	v_add_f16_e32 v26, v12, v16
	v_pack_b32_f16 v18, v18, v26
	v_add_f16_e32 v26, v62, v20
	v_add_f16_e32 v28, v14, v22
	v_pack_b32_f16 v26, v26, v28
	ds_write2_b32 v61, v26, v18 offset0:2 offset1:3
	v_fma_f16 v18, v50, s9, v49
	v_fma_f16 v18, v51, s7, v18
	;; [unrolled: 1-line block ×12, first 2 shown]
	v_mul_f16_e32 v18, 0x3a79, v9
	v_fma_f16 v18, v10, s4, -v18
	v_mul_f16_e32 v10, 0x3a79, v10
	v_fma_f16 v9, v9, s7, -v10
	v_add_f16_e32 v26, v7, v18
	v_add_f16_e32 v28, v8, v9
	v_pk_add_f16 v10, v59, v60 neg_lo:[0,1] neg_hi:[0,1]
	v_pack_b32_f16 v26, v26, v28
	ds_write2_b32 v61, v26, v10 offset0:4 offset1:5
	v_sub_f16_e32 v10, v52, v46
	v_sub_f16_e32 v20, v62, v20
	;; [unrolled: 1-line block ×4, first 2 shown]
	v_pack_b32_f16 v10, v10, v26
	v_pack_b32_f16 v14, v20, v14
	ds_write2_b32 v61, v10, v14 offset0:6 offset1:7
	v_sub_f16_e32 v10, v47, v24
	v_sub_f16_e32 v7, v7, v18
	;; [unrolled: 1-line block ×4, first 2 shown]
	v_pack_b32_f16 v7, v7, v8
	v_pack_b32_f16 v8, v10, v12
	ds_write2_b32 v61, v8, v7 offset0:8 offset1:9
	v_sub_f16_e32 v7, v21, v19
	v_sub_f16_e32 v8, v25, v23
	v_add_f16_e32 v7, v8, v7
	v_add_f16_e32 v8, v23, v19
	v_fma_f16 v8, v8, -0.5, v27
	v_sub_f16_sdwa v9, v25, v21 dst_sel:DWORD dst_unused:UNUSED_PAD src0_sel:WORD_1 src1_sel:WORD_1
	v_fma_f16 v10, v9, s5, v8
	v_sub_f16_sdwa v16, v23, v19 dst_sel:DWORD dst_unused:UNUSED_PAD src0_sel:WORD_1 src1_sel:WORD_1
	v_fma_f16 v8, v9, s9, v8
	v_fma_f16 v10, v16, s4, v10
	;; [unrolled: 1-line block ×5, first 2 shown]
	v_sub_f16_e32 v7, v19, v21
	v_sub_f16_e32 v8, v23, v25
	v_add_f16_e32 v7, v8, v7
	v_add_f16_e32 v8, v25, v21
	v_fma_f16 v8, v8, -0.5, v27
	v_fma_f16 v10, v16, s9, v8
	v_fma_f16 v8, v16, s5, v8
	;; [unrolled: 1-line block ×6, first 2 shown]
	v_sub_f16_sdwa v7, v25, v23 dst_sel:DWORD dst_unused:UNUSED_PAD src0_sel:WORD_1 src1_sel:WORD_1
	v_sub_f16_sdwa v8, v21, v19 dst_sel:DWORD dst_unused:UNUSED_PAD src0_sel:WORD_1 src1_sel:WORD_1
	v_add_f16_e32 v7, v7, v8
	v_add_f16_sdwa v8, v23, v19 dst_sel:DWORD dst_unused:UNUSED_PAD src0_sel:WORD_1 src1_sel:WORD_1
	v_lshrrev_b32_e32 v9, 16, v27
	v_fma_f16 v8, v8, -0.5, v9
	v_sub_f16_e32 v10, v25, v21
	v_fma_f16 v20, v10, s9, v8
	v_sub_f16_e32 v24, v23, v19
	v_fma_f16 v8, v10, s5, v8
	v_fma_f16 v20, v24, s7, v20
	;; [unrolled: 1-line block ×5, first 2 shown]
	v_add_f16_sdwa v7, v25, v21 dst_sel:DWORD dst_unused:UNUSED_PAD src0_sel:WORD_1 src1_sel:WORD_1
	v_fma_f16 v7, v7, -0.5, v9
	v_sub_f16_sdwa v8, v23, v25 dst_sel:DWORD dst_unused:UNUSED_PAD src0_sel:WORD_1 src1_sel:WORD_1
	v_sub_f16_sdwa v9, v19, v21 dst_sel:DWORD dst_unused:UNUSED_PAD src0_sel:WORD_1 src1_sel:WORD_1
	v_add_f16_e32 v8, v8, v9
	v_fma_f16 v9, v24, s5, v7
	v_fma_f16 v7, v24, s9, v7
	v_fma_f16 v9, v10, s7, v9
	v_fma_f16 v7, v10, s4, v7
	v_fma_f16 v24, v8, s8, v9
	v_fma_f16 v41, v8, s8, v7
	v_sub_f16_e32 v7, v39, v15
	v_sub_f16_e32 v8, v17, v13
	v_add_f16_e32 v7, v8, v7
	v_add_f16_e32 v8, v13, v15
	v_fma_f16 v8, v8, -0.5, v11
	v_sub_f16_sdwa v9, v17, v39 dst_sel:DWORD dst_unused:UNUSED_PAD src0_sel:WORD_1 src1_sel:WORD_1
	v_fma_f16 v10, v9, s5, v8
	v_sub_f16_sdwa v26, v13, v15 dst_sel:DWORD dst_unused:UNUSED_PAD src0_sel:WORD_1 src1_sel:WORD_1
	v_fma_f16 v8, v9, s9, v8
	v_fma_f16 v10, v26, s4, v10
	v_fma_f16 v8, v26, s7, v8
	v_fma_f16 v10, v7, s8, v10
	v_fma_f16 v7, v7, s8, v8
	v_sub_f16_e32 v8, v15, v39
	v_sub_f16_e32 v28, v13, v17
	v_add_f16_e32 v8, v28, v8
	v_add_f16_e32 v28, v17, v39
	v_fma_f16 v28, v28, -0.5, v11
	v_fma_f16 v33, v26, s9, v28
	v_fma_f16 v26, v26, s5, v28
	;; [unrolled: 1-line block ×6, first 2 shown]
	v_sub_f16_sdwa v9, v17, v13 dst_sel:DWORD dst_unused:UNUSED_PAD src0_sel:WORD_1 src1_sel:WORD_1
	v_sub_f16_sdwa v28, v39, v15 dst_sel:DWORD dst_unused:UNUSED_PAD src0_sel:WORD_1 src1_sel:WORD_1
	v_add_f16_e32 v9, v9, v28
	v_add_f16_sdwa v28, v13, v15 dst_sel:DWORD dst_unused:UNUSED_PAD src0_sel:WORD_1 src1_sel:WORD_1
	v_lshrrev_b32_e32 v33, 16, v11
	v_fma_f16 v28, v28, -0.5, v33
	v_sub_f16_e32 v34, v17, v39
	v_fma_f16 v42, v34, s9, v28
	v_sub_f16_e32 v43, v13, v15
	v_fma_f16 v28, v34, s5, v28
	v_fma_f16 v42, v43, s7, v42
	;; [unrolled: 1-line block ×5, first 2 shown]
	v_add_f16_sdwa v28, v17, v39 dst_sel:DWORD dst_unused:UNUSED_PAD src0_sel:WORD_1 src1_sel:WORD_1
	v_fma_f16 v28, v28, -0.5, v33
	v_sub_f16_sdwa v33, v13, v17 dst_sel:DWORD dst_unused:UNUSED_PAD src0_sel:WORD_1 src1_sel:WORD_1
	v_sub_f16_sdwa v42, v15, v39 dst_sel:DWORD dst_unused:UNUSED_PAD src0_sel:WORD_1 src1_sel:WORD_1
	v_add_f16_e32 v33, v33, v42
	v_fma_f16 v42, v43, s5, v28
	v_fma_f16 v28, v43, s9, v28
	;; [unrolled: 1-line block ×6, first 2 shown]
	v_mul_f16_e32 v33, 0x3a79, v10
	v_mul_f16_e32 v10, 0xb8b4, v10
	v_fma_f16 v42, v44, s4, v33
	v_fma_f16 v44, v44, s14, v10
	v_mul_f16_e32 v10, 0x3b9c, v34
	v_fma_f16 v43, v26, s8, v10
	v_mul_f16_e32 v10, 0xbb9c, v26
	;; [unrolled: 2-line block ×3, first 2 shown]
	v_fma_f16 v45, v28, s5, -v10
	v_mul_f16_e32 v10, 0x34f2, v28
	v_fma_f16 v48, v8, s9, -v10
	v_mul_f16_e32 v8, 0x3a79, v7
	;; [unrolled: 2-line block ×3, first 2 shown]
	v_fma_f16 v49, v7, s7, -v8
	v_sub_f16_e32 v7, v12, v42
	v_sub_f16_e32 v8, v16, v43
	;; [unrolled: 1-line block ×8, first 2 shown]
	s_and_saveexec_b64 s[4:5], vcc
	s_cbranch_execz .LBB0_21
; %bb.20:
	v_pk_add_f16 v25, v27, v25
	v_pk_add_f16 v11, v11, v17
	v_pk_add_f16 v23, v25, v23
	v_pk_add_f16 v11, v11, v13
	v_pk_add_f16 v19, v23, v19
	v_pk_add_f16 v11, v11, v15
	v_add_f16_e32 v20, v20, v44
	v_add_f16_e32 v12, v12, v42
	v_lshl_add_u32 v27, v32, 2, v40
	v_pk_add_f16 v19, v19, v21
	v_pk_add_f16 v11, v11, v39
	v_add_f16_e32 v17, v22, v49
	v_add_f16_e32 v22, v41, v48
	;; [unrolled: 1-line block ×5, first 2 shown]
	v_add_u32_e32 v32, 0xfa0, v27
	v_pk_add_f16 v13, v19, v11
	v_pack_b32_f16 v12, v12, v20
	v_add_f16_e32 v14, v14, v47
	ds_write2_b32 v32, v13, v12 offset1:1
	v_add_u32_e32 v12, 0xfa8, v27
	v_pack_b32_f16 v13, v18, v22
	v_pack_b32_f16 v15, v16, v24
	ds_write2_b32 v12, v15, v13 offset1:1
	v_add_u32_e32 v12, 0xfb0, v27
	v_pk_add_f16 v11, v19, v11 neg_lo:[0,1] neg_hi:[0,1]
	v_pack_b32_f16 v13, v14, v17
	ds_write2_b32 v12, v13, v11 offset1:1
	v_add_u32_e32 v11, 0xfb8, v27
	v_perm_b32 v12, v26, v8, s6
	v_perm_b32 v13, v33, v7, s6
	ds_write2_b32 v11, v13, v12 offset1:1
	v_add_u32_e32 v11, 0xfc0, v27
	v_perm_b32 v12, v28, v10, s6
	v_perm_b32 v13, v34, v9, s6
	ds_write2_b32 v11, v13, v12 offset1:1
.LBB0_21:
	s_or_b64 exec, exec, s[4:5]
	s_movk_i32 s4, 0xcd
	v_mul_lo_u16_sdwa v11, v3, s4 dst_sel:DWORD dst_unused:UNUSED_PAD src0_sel:BYTE_0 src1_sel:DWORD
	v_lshrrev_b16_e32 v51, 11, v11
	v_mul_lo_u16_e32 v11, 10, v51
	v_sub_u16_e32 v52, v3, v11
	v_mov_b32_e32 v11, 15
	v_mul_u32_u24_sdwa v11, v52, v11 dst_sel:DWORD dst_unused:UNUSED_PAD src0_sel:BYTE_0 src1_sel:DWORD
	v_lshlrev_b32_e32 v53, 2, v11
	s_waitcnt lgkmcnt(0)
	s_barrier
	ds_read_b32 v25, v30
	ds_read2_b32 v[15:16], v4 offset0:100 offset1:200
	ds_read2_b32 v[17:18], v35 offset0:44 offset1:144
	global_load_dwordx4 v[11:14], v53, s[12:13]
	v_add_u32_e32 v32, 0x600, v4
	ds_read2_b32 v[19:20], v32 offset0:116 offset1:216
	s_waitcnt lgkmcnt(2)
	v_lshrrev_b32_e32 v54, 16, v15
	s_waitcnt lgkmcnt(1)
	v_lshrrev_b32_e32 v27, 16, v18
	ds_read2_b32 v[21:22], v37 offset0:60 offset1:160
	ds_read2_b32 v[23:24], v31 offset0:132 offset1:232
	s_waitcnt lgkmcnt(2)
	v_lshrrev_b32_e32 v39, 16, v19
	v_lshrrev_b32_e32 v40, 16, v20
	ds_read2_b32 v[35:36], v36 offset0:76 offset1:176
	s_waitcnt lgkmcnt(2)
	v_lshrrev_b32_e32 v41, 16, v21
	v_lshrrev_b32_e32 v42, 16, v22
	s_waitcnt lgkmcnt(1)
	v_lshrrev_b32_e32 v43, 16, v23
	v_lshrrev_b32_e32 v44, 16, v24
	;; [unrolled: 3-line block ×3, first 2 shown]
	ds_read2_b32 v[37:38], v38 offset0:20 offset1:120
	ds_read_b32 v49, v4 offset:6000
	s_mov_b32 s4, 0xb9a8
	s_movk_i32 s5, 0x39a8
	s_mov_b32 s6, 0xbb64
	s_waitcnt lgkmcnt(1)
	v_lshrrev_b32_e32 v47, 16, v37
	v_lshrrev_b32_e32 v48, 16, v38
	s_waitcnt lgkmcnt(0)
	v_lshrrev_b32_e32 v50, 16, v49
	s_movk_i32 s8, 0x361f
	s_mov_b32 s7, 0xb61f
	s_movk_i32 s9, 0x3b64
	s_waitcnt vmcnt(0)
	v_mul_f16_sdwa v55, v11, v54 dst_sel:DWORD dst_unused:UNUSED_PAD src0_sel:WORD_1 src1_sel:DWORD
	v_fma_f16 v55, v11, v15, -v55
	v_mul_f16_sdwa v15, v11, v15 dst_sel:DWORD dst_unused:UNUSED_PAD src0_sel:WORD_1 src1_sel:DWORD
	v_fma_f16 v15, v11, v54, v15
	v_lshrrev_b32_e32 v11, 16, v16
	v_mul_f16_sdwa v54, v12, v11 dst_sel:DWORD dst_unused:UNUSED_PAD src0_sel:WORD_1 src1_sel:DWORD
	v_fma_f16 v54, v12, v16, -v54
	v_mul_f16_sdwa v16, v12, v16 dst_sel:DWORD dst_unused:UNUSED_PAD src0_sel:WORD_1 src1_sel:DWORD
	v_fma_f16 v16, v12, v11, v16
	v_lshrrev_b32_e32 v11, 16, v17
	v_mul_f16_sdwa v12, v13, v11 dst_sel:DWORD dst_unused:UNUSED_PAD src0_sel:WORD_1 src1_sel:DWORD
	v_fma_f16 v56, v13, v17, -v12
	v_mul_f16_sdwa v12, v13, v17 dst_sel:DWORD dst_unused:UNUSED_PAD src0_sel:WORD_1 src1_sel:DWORD
	v_fma_f16 v17, v13, v11, v12
	v_mul_f16_sdwa v11, v27, v14 dst_sel:DWORD dst_unused:UNUSED_PAD src0_sel:DWORD src1_sel:WORD_1
	v_fma_f16 v57, v18, v14, -v11
	v_mul_f16_sdwa v11, v18, v14 dst_sel:DWORD dst_unused:UNUSED_PAD src0_sel:DWORD src1_sel:WORD_1
	v_fma_f16 v18, v27, v14, v11
	global_load_dwordx4 v[11:14], v53, s[12:13] offset:16
	s_waitcnt vmcnt(0)
	v_mul_f16_sdwa v27, v39, v11 dst_sel:DWORD dst_unused:UNUSED_PAD src0_sel:DWORD src1_sel:WORD_1
	v_fma_f16 v27, v19, v11, -v27
	v_mul_f16_sdwa v19, v19, v11 dst_sel:DWORD dst_unused:UNUSED_PAD src0_sel:DWORD src1_sel:WORD_1
	v_fma_f16 v19, v39, v11, v19
	v_mul_f16_sdwa v11, v40, v12 dst_sel:DWORD dst_unused:UNUSED_PAD src0_sel:DWORD src1_sel:WORD_1
	v_fma_f16 v39, v20, v12, -v11
	v_mul_f16_sdwa v11, v20, v12 dst_sel:DWORD dst_unused:UNUSED_PAD src0_sel:DWORD src1_sel:WORD_1
	v_fma_f16 v20, v40, v12, v11
	;; [unrolled: 4-line block ×4, first 2 shown]
	global_load_dwordx4 v[11:14], v53, s[12:13] offset:32
	v_sub_f16_e32 v41, v25, v41
	s_waitcnt vmcnt(0)
	v_mul_f16_sdwa v42, v43, v11 dst_sel:DWORD dst_unused:UNUSED_PAD src0_sel:DWORD src1_sel:WORD_1
	v_fma_f16 v42, v23, v11, -v42
	v_mul_f16_sdwa v23, v23, v11 dst_sel:DWORD dst_unused:UNUSED_PAD src0_sel:DWORD src1_sel:WORD_1
	v_fma_f16 v23, v43, v11, v23
	v_mul_f16_sdwa v11, v44, v12 dst_sel:DWORD dst_unused:UNUSED_PAD src0_sel:DWORD src1_sel:WORD_1
	v_fma_f16 v43, v24, v12, -v11
	v_mul_f16_sdwa v11, v24, v12 dst_sel:DWORD dst_unused:UNUSED_PAD src0_sel:DWORD src1_sel:WORD_1
	v_fma_f16 v24, v44, v12, v11
	;; [unrolled: 4-line block ×4, first 2 shown]
	global_load_dwordx3 v[11:13], v53, s[12:13] offset:48
	v_sub_f16_e32 v45, v57, v45
	v_sub_f16_e32 v24, v16, v24
	;; [unrolled: 1-line block ×4, first 2 shown]
	v_fma_f16 v18, v18, 2.0, -v14
	v_fma_f16 v16, v16, 2.0, -v24
	v_sub_f16_e32 v42, v55, v42
	v_sub_f16_e32 v44, v56, v44
	;; [unrolled: 1-line block ×5, first 2 shown]
	v_fma_f16 v15, v15, 2.0, -v23
	v_fma_f16 v17, v17, 2.0, -v35
	s_waitcnt vmcnt(0)
	s_barrier
	v_mul_f16_sdwa v36, v47, v11 dst_sel:DWORD dst_unused:UNUSED_PAD src0_sel:DWORD src1_sel:WORD_1
	v_fma_f16 v36, v37, v11, -v36
	v_mul_f16_sdwa v37, v37, v11 dst_sel:DWORD dst_unused:UNUSED_PAD src0_sel:DWORD src1_sel:WORD_1
	v_fma_f16 v11, v47, v11, v37
	v_mul_f16_sdwa v37, v48, v12 dst_sel:DWORD dst_unused:UNUSED_PAD src0_sel:DWORD src1_sel:WORD_1
	v_fma_f16 v37, v38, v12, -v37
	v_mul_f16_sdwa v38, v38, v12 dst_sel:DWORD dst_unused:UNUSED_PAD src0_sel:DWORD src1_sel:WORD_1
	v_fma_f16 v12, v48, v12, v38
	v_mul_f16_sdwa v38, v50, v13 dst_sel:DWORD dst_unused:UNUSED_PAD src0_sel:DWORD src1_sel:WORD_1
	v_mul_f16_sdwa v46, v49, v13 dst_sel:DWORD dst_unused:UNUSED_PAD src0_sel:DWORD src1_sel:WORD_1
	v_fma_f16 v38, v49, v13, -v38
	v_fma_f16 v13, v50, v13, v46
	v_lshrrev_b32_e32 v46, 16, v25
	v_sub_f16_e32 v22, v46, v22
	v_sub_f16_e32 v37, v39, v37
	v_fma_f16 v47, v57, 2.0, -v45
	v_sub_f16_e32 v12, v20, v12
	v_fma_f16 v39, v39, 2.0, -v37
	v_add_f16_e32 v45, v22, v45
	v_add_f16_e32 v37, v24, v37
	v_fma_f16 v46, v46, 2.0, -v22
	v_fma_f16 v20, v20, 2.0, -v12
	v_sub_f16_e32 v36, v27, v36
	v_sub_f16_e32 v38, v40, v38
	v_fma_f16 v22, v22, 2.0, -v45
	v_sub_f16_e32 v12, v43, v12
	v_fma_f16 v24, v24, 2.0, -v37
	v_fma_f16 v25, v25, 2.0, -v41
	;; [unrolled: 1-line block ×9, first 2 shown]
	v_fma_f16 v54, v24, s4, v22
	v_sub_f16_e32 v11, v19, v11
	v_sub_f16_e32 v13, v21, v13
	;; [unrolled: 1-line block ×3, first 2 shown]
	v_add_f16_e32 v36, v23, v36
	v_sub_f16_e32 v40, v50, v40
	v_add_f16_e32 v38, v35, v38
	v_fma_f16 v53, v43, s4, v41
	v_fma_f16 v43, v43, s5, v54
	;; [unrolled: 1-line block ×3, first 2 shown]
	v_fma_f16 v19, v19, 2.0, -v11
	v_fma_f16 v21, v21, 2.0, -v13
	v_sub_f16_e32 v47, v25, v47
	v_sub_f16_e32 v39, v48, v39
	v_fma_f16 v49, v49, 2.0, -v27
	v_sub_f16_e32 v11, v42, v11
	v_fma_f16 v23, v23, 2.0, -v36
	v_fma_f16 v50, v50, 2.0, -v40
	v_sub_f16_e32 v13, v44, v13
	v_fma_f16 v35, v35, 2.0, -v38
	v_fma_f16 v24, v24, s4, v53
	v_fma_f16 v53, v12, s5, v14
	;; [unrolled: 1-line block ×3, first 2 shown]
	v_fma_f16 v25, v25, 2.0, -v47
	v_fma_f16 v48, v48, 2.0, -v39
	;; [unrolled: 1-line block ×4, first 2 shown]
	v_fma_f16 v53, v37, s4, v53
	v_fma_f16 v37, v45, 2.0, -v54
	v_sub_f16_e32 v45, v49, v50
	v_fma_f16 v50, v35, s4, v23
	v_sub_f16_e32 v18, v46, v18
	v_sub_f16_e32 v19, v15, v19
	;; [unrolled: 1-line block ×3, first 2 shown]
	v_fma_f16 v12, v49, 2.0, -v45
	v_fma_f16 v49, v44, s4, v42
	v_fma_f16 v44, v44, s5, v50
	v_sub_f16_e32 v20, v16, v20
	v_sub_f16_e32 v21, v17, v21
	v_fma_f16 v25, v25, 2.0, -v48
	v_fma_f16 v22, v22, 2.0, -v43
	v_add_f16_e32 v39, v18, v39
	v_fma_f16 v35, v35, s4, v49
	v_fma_f16 v23, v23, 2.0, -v44
	v_add_f16_e32 v40, v19, v40
	v_fma_f16 v49, v13, s5, v11
	v_fma_f16 v46, v46, 2.0, -v18
	v_fma_f16 v16, v16, 2.0, -v20
	;; [unrolled: 1-line block ×5, first 2 shown]
	v_sub_f16_e32 v20, v47, v20
	v_fma_f16 v18, v18, 2.0, -v39
	v_fma_f16 v42, v42, 2.0, -v35
	v_sub_f16_e32 v21, v27, v21
	v_fma_f16 v19, v19, 2.0, -v40
	v_fma_f16 v50, v38, s5, v36
	v_fma_f16 v49, v38, s4, v49
	v_sub_f16_e32 v55, v25, v12
	v_fma_f16 v12, v23, s6, v22
	v_fma_f16 v47, v47, 2.0, -v20
	v_fma_f16 v14, v14, 2.0, -v53
	;; [unrolled: 1-line block ×3, first 2 shown]
	v_fma_f16 v50, v13, s5, v50
	v_fma_f16 v13, v11, 2.0, -v49
	v_fma_f16 v11, v42, s6, v41
	v_fma_f16 v42, v42, s8, v12
	;; [unrolled: 1-line block ×3, first 2 shown]
	v_sub_f16_e32 v16, v46, v16
	v_sub_f16_e32 v17, v15, v17
	v_fma_f16 v36, v36, 2.0, -v50
	v_fma_f16 v57, v25, 2.0, -v55
	v_fma_f16 v23, v23, s7, v11
	v_fma_f16 v11, v27, s4, v47
	;; [unrolled: 1-line block ×4, first 2 shown]
	v_fma_f16 v46, v46, 2.0, -v16
	v_fma_f16 v15, v15, 2.0, -v17
	v_fma_f16 v11, v19, s4, v11
	v_fma_f16 v12, v36, s6, v12
	v_sub_f16_e32 v56, v46, v15
	v_fma_f16 v19, v47, 2.0, -v11
	v_fma_f16 v15, v36, s7, v37
	v_fma_f16 v47, v14, 2.0, -v12
	v_fma_f16 v14, v35, s8, v24
	v_fma_f16 v27, v13, s9, v15
	v_add_f16_e32 v36, v16, v45
	v_fma_f16 v15, v44, s8, v43
	v_fma_f16 v14, v44, s6, v14
	v_mul_u32_u24_e32 v44, 0xa0, v51
	v_fma_f16 v45, v16, 2.0, -v36
	v_fma_f16 v16, v40, s5, v39
	v_or_b32_sdwa v44, v44, v52 dst_sel:DWORD dst_unused:UNUSED_PAD src0_sel:DWORD src1_sel:BYTE_0
	v_fma_f16 v18, v18, 2.0, -v25
	v_fma_f16 v58, v37, 2.0, -v27
	v_sub_f16_e32 v13, v48, v17
	v_fma_f16 v35, v35, s9, v15
	v_fma_f16 v15, v21, s5, v20
	;; [unrolled: 1-line block ×5, first 2 shown]
	v_lshlrev_b32_e32 v44, 2, v44
	v_fma_f16 v17, v48, 2.0, -v13
	v_fma_f16 v24, v24, 2.0, -v14
	;; [unrolled: 1-line block ×3, first 2 shown]
	v_fma_f16 v15, v40, s4, v15
	v_fma_f16 v16, v50, s7, v16
	;; [unrolled: 1-line block ×3, first 2 shown]
	v_add3_u32 v29, 0, v44, v29
	v_pack_b32_f16 v18, v19, v18
	v_pack_b32_f16 v19, v47, v58
	v_fma_f16 v20, v20, 2.0, -v15
	v_fma_f16 v21, v39, 2.0, -v38
	;; [unrolled: 1-line block ×4, first 2 shown]
	ds_write2_b32 v29, v18, v19 offset0:20 offset1:30
	v_pack_b32_f16 v17, v17, v45
	v_pack_b32_f16 v18, v24, v43
	ds_write2_b32 v29, v17, v18 offset0:40 offset1:50
	v_pack_b32_f16 v17, v20, v21
	v_pack_b32_f16 v18, v39, v40
	;; [unrolled: 3-line block ×5, first 2 shown]
	v_fma_f16 v46, v46, 2.0, -v56
	v_fma_f16 v41, v41, 2.0, -v23
	;; [unrolled: 1-line block ×3, first 2 shown]
	ds_write2_b32 v29, v17, v18 offset0:120 offset1:130
	v_pack_b32_f16 v17, v15, v38
	v_pack_b32_f16 v18, v16, v37
	v_pack_b32_f16 v44, v57, v46
	v_pack_b32_f16 v22, v41, v22
	ds_write2_b32 v29, v17, v18 offset0:140 offset1:150
	v_add_u32_e32 v17, 0x200, v4
	ds_write2_b32 v29, v44, v22 offset1:10
	s_waitcnt lgkmcnt(0)
	s_barrier
	ds_read2_b32 v[23:24], v17 offset0:32 offset1:192
	v_add_u32_e32 v17, 0x700, v4
	ds_read_b32 v29, v30
	ds_read2_b32 v[21:22], v17 offset0:32 offset1:192
	ds_read2_b32 v[19:20], v31 offset0:32 offset1:192
	v_add_u32_e32 v17, 0x1100, v4
	ds_read2_b32 v[17:18], v17 offset0:32 offset1:192
	ds_read_b32 v30, v4 offset:5760
	s_and_saveexec_b64 s[4:5], vcc
	s_cbranch_execz .LBB0_23
; %bb.22:
	v_add_u32_e32 v7, 0x100, v4
	ds_read2_b32 v[11:12], v7 offset0:36 offset1:196
	v_add_u32_e32 v7, 0xb00, v4
	ds_read2_b32 v[15:16], v7 offset0:36 offset1:196
	v_add_u32_e32 v7, 0x1000, v4
	v_add_u32_e32 v9, 0x1500, v4
	ds_read2_b32 v[13:14], v32 offset0:36 offset1:196
	ds_read2_b32 v[7:8], v7 offset0:36 offset1:196
	;; [unrolled: 1-line block ×3, first 2 shown]
	s_waitcnt lgkmcnt(4)
	v_lshrrev_b32_e32 v25, 16, v11
	v_lshrrev_b32_e32 v27, 16, v12
	s_waitcnt lgkmcnt(2)
	v_lshrrev_b32_e32 v36, 16, v13
	v_lshrrev_b32_e32 v35, 16, v14
	;; [unrolled: 1-line block ×4, first 2 shown]
	s_waitcnt lgkmcnt(1)
	v_lshrrev_b32_e32 v33, 16, v7
	v_lshrrev_b32_e32 v26, 16, v8
	s_waitcnt lgkmcnt(0)
	v_lshrrev_b32_e32 v34, 16, v9
	v_lshrrev_b32_e32 v28, 16, v10
.LBB0_23:
	s_or_b64 exec, exec, s[4:5]
	v_mul_u32_u24_e32 v39, 9, v3
	v_lshlrev_b32_e32 v51, 2, v39
	global_load_dwordx4 v[39:42], v51, s[12:13] offset:600
	s_waitcnt lgkmcnt(5)
	v_lshrrev_b32_e32 v50, 16, v23
	v_lshrrev_b32_e32 v49, 16, v24
	s_waitcnt lgkmcnt(3)
	v_lshrrev_b32_e32 v48, 16, v21
	v_lshrrev_b32_e32 v47, 16, v22
	;; [unrolled: 3-line block ×4, first 2 shown]
	s_waitcnt lgkmcnt(0)
	v_lshrrev_b32_e32 v32, 16, v30
	s_movk_i32 s6, 0x3b9c
	s_mov_b32 s9, 0xbb9c
	s_movk_i32 s7, 0x38b4
	s_mov_b32 s14, 0xb8b4
	s_movk_i32 s8, 0x34f2
	v_lshrrev_b32_e32 v31, 16, v29
	s_movk_i32 s15, 0x3a79
	s_waitcnt vmcnt(0)
	v_mul_f16_sdwa v52, v39, v50 dst_sel:DWORD dst_unused:UNUSED_PAD src0_sel:WORD_1 src1_sel:DWORD
	v_fma_f16 v52, v39, v23, -v52
	v_mul_f16_sdwa v23, v39, v23 dst_sel:DWORD dst_unused:UNUSED_PAD src0_sel:WORD_1 src1_sel:DWORD
	v_fma_f16 v39, v39, v50, v23
	v_mul_f16_sdwa v23, v40, v49 dst_sel:DWORD dst_unused:UNUSED_PAD src0_sel:WORD_1 src1_sel:DWORD
	v_fma_f16 v50, v40, v24, -v23
	v_mul_f16_sdwa v23, v40, v24 dst_sel:DWORD dst_unused:UNUSED_PAD src0_sel:WORD_1 src1_sel:DWORD
	v_fma_f16 v40, v40, v49, v23
	;; [unrolled: 4-line block ×4, first 2 shown]
	global_load_dwordx4 v[21:24], v51, s[12:13] offset:616
	s_waitcnt vmcnt(0)
	v_mul_f16_sdwa v47, v21, v46 dst_sel:DWORD dst_unused:UNUSED_PAD src0_sel:WORD_1 src1_sel:DWORD
	v_fma_f16 v47, v21, v19, -v47
	v_mul_f16_sdwa v19, v21, v19 dst_sel:DWORD dst_unused:UNUSED_PAD src0_sel:WORD_1 src1_sel:DWORD
	v_fma_f16 v19, v21, v46, v19
	v_mul_f16_sdwa v21, v22, v45 dst_sel:DWORD dst_unused:UNUSED_PAD src0_sel:WORD_1 src1_sel:DWORD
	v_fma_f16 v21, v22, v20, -v21
	v_mul_f16_sdwa v20, v22, v20 dst_sel:DWORD dst_unused:UNUSED_PAD src0_sel:WORD_1 src1_sel:DWORD
	v_fma_f16 v20, v22, v45, v20
	;; [unrolled: 4-line block ×4, first 2 shown]
	global_load_dword v24, v51, s[12:13] offset:632
	v_sub_f16_e32 v44, v40, v18
	v_sub_f16_e32 v46, v42, v20
	;; [unrolled: 1-line block ×4, first 2 shown]
	v_add_f16_e32 v51, v51, v53
	v_sub_f16_e32 v53, v48, v50
	v_sub_f16_e32 v54, v21, v23
	v_add_f16_e32 v53, v53, v54
	s_waitcnt vmcnt(0)
	s_barrier
	v_mul_f16_sdwa v43, v32, v24 dst_sel:DWORD dst_unused:UNUSED_PAD src0_sel:DWORD src1_sel:WORD_1
	v_fma_f16 v43, v30, v24, -v43
	v_mul_f16_sdwa v30, v30, v24 dst_sel:DWORD dst_unused:UNUSED_PAD src0_sel:DWORD src1_sel:WORD_1
	v_fma_f16 v24, v32, v24, v30
	v_add_f16_e32 v32, v48, v21
	v_fma_f16 v32, v32, -0.5, v29
	v_fma_f16 v45, v44, s6, v32
	v_fma_f16 v32, v44, s9, v32
	;; [unrolled: 1-line block ×4, first 2 shown]
	v_add_f16_e32 v30, v29, v50
	v_fma_f16 v45, v51, s8, v45
	v_fma_f16 v32, v51, s8, v32
	v_add_f16_e32 v51, v50, v23
	v_add_f16_e32 v30, v30, v48
	v_fma_f16 v29, v51, -0.5, v29
	v_add_f16_e32 v30, v30, v21
	v_fma_f16 v51, v46, s9, v29
	v_fma_f16 v29, v46, s6, v29
	v_add_f16_e32 v46, v42, v20
	v_add_f16_e32 v30, v30, v23
	v_fma_f16 v46, v46, -0.5, v31
	v_sub_f16_e32 v23, v50, v23
	v_fma_f16 v51, v44, s7, v51
	v_fma_f16 v29, v44, s14, v29
	;; [unrolled: 1-line block ×3, first 2 shown]
	v_sub_f16_e32 v21, v48, v21
	v_fma_f16 v51, v53, s8, v51
	v_fma_f16 v29, v53, s8, v29
	v_fma_f16 v48, v21, s14, v50
	v_sub_f16_e32 v50, v40, v42
	v_sub_f16_e32 v53, v18, v20
	v_fma_f16 v46, v23, s6, v46
	v_add_f16_e32 v50, v50, v53
	v_fma_f16 v46, v21, s7, v46
	v_add_f16_e32 v44, v31, v40
	v_fma_f16 v48, v50, s8, v48
	v_fma_f16 v46, v50, s8, v46
	v_add_f16_e32 v50, v40, v18
	v_add_f16_e32 v44, v44, v42
	v_fma_f16 v31, v50, -0.5, v31
	v_add_f16_e32 v44, v44, v20
	v_fma_f16 v50, v21, s6, v31
	v_fma_f16 v21, v21, s9, v31
	v_add_f16_e32 v44, v44, v18
	v_fma_f16 v50, v23, s14, v50
	v_sub_f16_e32 v40, v42, v40
	v_sub_f16_e32 v18, v20, v18
	v_fma_f16 v21, v23, s7, v21
	v_add_f16_e32 v23, v47, v22
	v_add_f16_e32 v18, v40, v18
	v_fma_f16 v23, v23, -0.5, v52
	v_sub_f16_e32 v31, v41, v24
	v_fma_f16 v20, v18, s8, v50
	v_fma_f16 v40, v31, s6, v23
	v_sub_f16_e32 v42, v19, v17
	v_sub_f16_e32 v50, v49, v47
	v_sub_f16_e32 v53, v43, v22
	v_fma_f16 v23, v31, s9, v23
	v_fma_f16 v40, v42, s7, v40
	v_add_f16_e32 v50, v50, v53
	v_fma_f16 v23, v42, s14, v23
	v_fma_f16 v18, v18, s8, v21
	v_add_f16_e32 v21, v52, v49
	;; [unrolled: 3-line block ×3, first 2 shown]
	v_add_f16_e32 v21, v21, v47
	v_fma_f16 v50, v50, -0.5, v52
	v_add_f16_e32 v21, v21, v22
	v_fma_f16 v52, v42, s9, v50
	v_fma_f16 v42, v42, s6, v50
	v_add_f16_e32 v50, v19, v17
	v_add_f16_e32 v21, v21, v43
	v_sub_f16_e32 v53, v47, v49
	v_sub_f16_e32 v54, v22, v43
	v_fma_f16 v50, v50, -0.5, v39
	v_sub_f16_e32 v43, v49, v43
	v_fma_f16 v52, v31, s7, v52
	v_add_f16_e32 v53, v53, v54
	v_fma_f16 v31, v31, s14, v42
	v_fma_f16 v49, v43, s9, v50
	v_sub_f16_e32 v22, v47, v22
	v_fma_f16 v52, v53, s8, v52
	v_fma_f16 v31, v53, s8, v31
	;; [unrolled: 1-line block ×3, first 2 shown]
	v_sub_f16_e32 v49, v41, v19
	v_sub_f16_e32 v53, v24, v17
	v_fma_f16 v50, v43, s6, v50
	v_add_f16_e32 v49, v49, v53
	v_fma_f16 v50, v22, s7, v50
	v_add_f16_e32 v42, v39, v41
	v_fma_f16 v47, v49, s8, v47
	v_fma_f16 v49, v49, s8, v50
	v_add_f16_e32 v50, v41, v24
	v_add_f16_e32 v42, v42, v19
	v_fma_f16 v39, v50, -0.5, v39
	v_add_f16_e32 v42, v42, v17
	v_fma_f16 v50, v22, s6, v39
	v_sub_f16_e32 v19, v19, v41
	v_sub_f16_e32 v17, v17, v24
	v_fma_f16 v50, v43, s14, v50
	v_add_f16_e32 v17, v19, v17
	v_fma_f16 v22, v22, s9, v39
	v_add_f16_e32 v42, v42, v24
	v_fma_f16 v19, v17, s8, v50
	v_fma_f16 v22, v43, s7, v22
	v_mul_f16_e32 v24, 0x38b4, v47
	v_fma_f16 v17, v17, s8, v22
	v_fma_f16 v24, v40, s15, v24
	v_mul_f16_e32 v41, 0x3b9c, v19
	v_mul_f16_e32 v50, 0x34f2, v31
	;; [unrolled: 1-line block ×3, first 2 shown]
	v_fma_f16 v41, v52, s8, v41
	v_fma_f16 v50, v17, s6, -v50
	v_mul_f16_e32 v54, 0x3a79, v23
	v_fma_f16 v40, v47, s15, v40
	v_mul_f16_e32 v52, 0xbb9c, v52
	v_mul_f16_e32 v17, 0x34f2, v17
	v_add_f16_e32 v22, v30, v21
	v_add_f16_e32 v39, v45, v24
	v_fma_f16 v54, v49, s7, -v54
	v_add_f16_e32 v56, v44, v42
	v_add_f16_e32 v47, v48, v40
	v_fma_f16 v19, v19, s8, v52
	v_fma_f16 v17, v31, s9, -v17
	v_mul_f16_e32 v49, 0x3a79, v49
	v_add_f16_e32 v43, v51, v41
	v_add_f16_e32 v53, v29, v50
	;; [unrolled: 1-line block ×4, first 2 shown]
	v_fma_f16 v23, v23, s14, -v49
	v_sub_f16_e32 v19, v20, v19
	v_pack_b32_f16 v20, v22, v56
	v_pack_b32_f16 v22, v39, v47
	v_add_f16_e32 v55, v32, v54
	v_add_f16_e32 v49, v46, v23
	v_sub_f16_e32 v21, v30, v21
	v_sub_f16_e32 v30, v51, v41
	;; [unrolled: 1-line block ×5, first 2 shown]
	ds_write2_b32 v4, v20, v22 offset1:160
	v_pack_b32_f16 v20, v43, v52
	v_pack_b32_f16 v22, v53, v31
	v_add_u32_e32 v23, 0x400, v4
	v_sub_f16_e32 v24, v45, v24
	v_sub_f16_e32 v40, v48, v40
	ds_write2_b32 v23, v20, v22 offset0:64 offset1:224
	v_pack_b32_f16 v20, v55, v49
	v_pack_b32_f16 v21, v21, v41
	v_add_u32_e32 v22, 0xa00, v4
	v_sub_f16_e32 v29, v29, v50
	v_sub_f16_e32 v32, v32, v54
	ds_write2_b32 v22, v20, v21 offset1:160
	v_pack_b32_f16 v20, v24, v40
	v_pack_b32_f16 v19, v30, v19
	v_add_u32_e32 v21, 0xe00, v4
	ds_write2_b32 v21, v20, v19 offset0:64 offset1:224
	v_pack_b32_f16 v17, v29, v17
	v_pack_b32_f16 v18, v32, v18
	v_add_u32_e32 v19, 0x1400, v4
	ds_write2_b32 v19, v17, v18 offset1:160
	s_and_saveexec_b64 s[4:5], vcc
	s_cbranch_execz .LBB0_25
; %bb.24:
	v_add_u32_e32 v17, 0x64, v3
	v_subrev_u32_e32 v18, 60, v3
	v_cndmask_b32_e32 v17, v18, v17, vcc
	v_mul_i32_i24_e32 v17, 9, v17
	v_mov_b32_e32 v18, 0
	v_lshlrev_b64 v[17:18], 2, v[17:18]
	v_mov_b32_e32 v19, s13
	v_add_co_u32_e32 v29, vcc, s12, v17
	v_addc_co_u32_e32 v30, vcc, v19, v18, vcc
	global_load_dwordx4 v[17:20], v[29:30], off offset:600
	global_load_dwordx4 v[21:24], v[29:30], off offset:616
	global_load_dword v31, v[29:30], off offset:632
	s_waitcnt vmcnt(2)
	v_mul_f16_sdwa v29, v13, v18 dst_sel:DWORD dst_unused:UNUSED_PAD src0_sel:DWORD src1_sel:WORD_1
	v_mul_f16_sdwa v30, v15, v20 dst_sel:DWORD dst_unused:UNUSED_PAD src0_sel:DWORD src1_sel:WORD_1
	;; [unrolled: 1-line block ×5, first 2 shown]
	s_waitcnt vmcnt(1)
	v_mul_f16_sdwa v45, v37, v21 dst_sel:DWORD dst_unused:UNUSED_PAD src0_sel:DWORD src1_sel:WORD_1
	v_mul_f16_sdwa v49, v14, v19 dst_sel:DWORD dst_unused:UNUSED_PAD src0_sel:DWORD src1_sel:WORD_1
	s_waitcnt vmcnt(0)
	v_mul_f16_sdwa v50, v10, v31 dst_sel:DWORD dst_unused:UNUSED_PAD src0_sel:DWORD src1_sel:WORD_1
	v_mul_f16_sdwa v51, v16, v21 dst_sel:DWORD dst_unused:UNUSED_PAD src0_sel:DWORD src1_sel:WORD_1
	v_mul_f16_sdwa v52, v8, v23 dst_sel:DWORD dst_unused:UNUSED_PAD src0_sel:DWORD src1_sel:WORD_1
	v_mul_f16_sdwa v32, v9, v24 dst_sel:DWORD dst_unused:UNUSED_PAD src0_sel:DWORD src1_sel:WORD_1
	v_mul_f16_sdwa v39, v7, v22 dst_sel:DWORD dst_unused:UNUSED_PAD src0_sel:DWORD src1_sel:WORD_1
	v_mul_f16_sdwa v46, v28, v31 dst_sel:DWORD dst_unused:UNUSED_PAD src0_sel:DWORD src1_sel:WORD_1
	v_mul_f16_sdwa v47, v26, v23 dst_sel:DWORD dst_unused:UNUSED_PAD src0_sel:DWORD src1_sel:WORD_1
	v_fma_f16 v29, v36, v18, v29
	v_fma_f16 v30, v38, v20, v30
	v_fma_f16 v15, v15, v20, -v40
	v_fma_f16 v13, v13, v18, -v42
	;; [unrolled: 1-line block ×4, first 2 shown]
	v_fma_f16 v18, v35, v19, v49
	v_fma_f16 v19, v28, v31, v50
	;; [unrolled: 1-line block ×4, first 2 shown]
	v_mul_f16_sdwa v41, v33, v22 dst_sel:DWORD dst_unused:UNUSED_PAD src0_sel:DWORD src1_sel:WORD_1
	v_mul_f16_sdwa v48, v27, v17 dst_sel:DWORD dst_unused:UNUSED_PAD src0_sel:DWORD src1_sel:WORD_1
	;; [unrolled: 1-line block ×3, first 2 shown]
	v_fma_f16 v32, v34, v24, v32
	v_fma_f16 v33, v33, v22, v39
	v_fma_f16 v10, v10, v31, -v46
	v_fma_f16 v8, v8, v23, -v47
	v_sub_f16_e32 v50, v20, v18
	v_sub_f16_e32 v51, v21, v19
	v_mul_f16_sdwa v43, v34, v24 dst_sel:DWORD dst_unused:UNUSED_PAD src0_sel:DWORD src1_sel:WORD_1
	v_fma_f16 v7, v7, v22, -v41
	v_fma_f16 v12, v12, v17, -v48
	v_fma_f16 v17, v27, v17, v53
	v_sub_f16_e32 v22, v29, v30
	v_sub_f16_e32 v23, v32, v33
	v_add_f16_e32 v27, v30, v33
	v_sub_f16_e32 v28, v14, v16
	v_sub_f16_e32 v31, v10, v8
	v_add_f16_e32 v34, v16, v8
	;; [unrolled: 3-line block ×3, first 2 shown]
	v_add_f16_e32 v44, v29, v32
	v_add_f16_e32 v50, v50, v51
	;; [unrolled: 1-line block ×4, first 2 shown]
	v_fma_f16 v23, v27, -0.5, v25
	v_add_f16_e32 v27, v28, v31
	v_fma_f16 v28, v34, -0.5, v12
	v_add_f16_e32 v31, v37, v38
	v_fma_f16 v34, v41, -0.5, v17
	v_fma_f16 v38, v44, -0.5, v25
	v_fma_f16 v51, v51, -0.5, v17
	v_add_f16_e32 v25, v25, v29
	v_add_f16_e32 v17, v17, v18
	;; [unrolled: 1-line block ×4, first 2 shown]
	v_fma_f16 v9, v9, v24, -v43
	v_add_f16_e32 v25, v25, v33
	v_add_f16_e32 v17, v17, v21
	v_sub_f16_e32 v35, v18, v19
	v_sub_f16_e32 v36, v20, v21
	v_sub_f16_e32 v42, v30, v29
	v_sub_f16_e32 v43, v33, v32
	v_add_f16_e32 v25, v25, v32
	v_add_f16_e32 v17, v17, v19
	v_sub_f16_e32 v19, v13, v15
	v_sub_f16_e32 v20, v9, v7
	;; [unrolled: 1-line block ×7, first 2 shown]
	v_add_f16_e32 v19, v19, v20
	v_add_f16_e32 v20, v15, v7
	;; [unrolled: 1-line block ×4, first 2 shown]
	v_sub_f16_e32 v24, v15, v7
	v_sub_f16_e32 v45, v16, v14
	;; [unrolled: 1-line block ×3, first 2 shown]
	v_add_f16_e32 v37, v42, v43
	v_fma_f16 v43, v26, s6, v23
	v_fma_f16 v23, v26, s9, v23
	v_fma_f16 v20, v20, -0.5, v11
	v_fma_f16 v33, v33, -0.5, v11
	v_add_f16_e32 v11, v11, v13
	v_sub_f16_e32 v40, v14, v10
	v_add_f16_e32 v47, v14, v10
	v_add_f16_e32 v41, v45, v46
	v_fma_f16 v46, v24, s9, v38
	v_fma_f16 v43, v24, s7, v43
	;; [unrolled: 1-line block ×4, first 2 shown]
	v_add_f16_e32 v11, v11, v15
	v_sub_f16_e32 v39, v16, v8
	v_fma_f16 v42, v47, -0.5, v12
	v_fma_f16 v46, v26, s7, v46
	v_fma_f16 v43, v22, s8, v43
	;; [unrolled: 1-line block ×6, first 2 shown]
	v_add_f16_e32 v7, v11, v7
	v_fma_f16 v44, v35, s9, v28
	v_fma_f16 v46, v37, s8, v46
	;; [unrolled: 1-line block ×11, first 2 shown]
	v_add_f16_e32 v7, v7, v9
	v_add_f16_e32 v9, v12, v14
	v_fma_f16 v45, v40, s6, v34
	v_fma_f16 v49, v35, s14, v49
	;; [unrolled: 1-line block ×11, first 2 shown]
	v_add_f16_e32 v9, v9, v16
	v_fma_f16 v44, v36, s14, v44
	v_fma_f16 v45, v39, s7, v45
	v_fma_f16 v49, v41, s8, v49
	v_fma_f16 v52, v50, s8, v52
	v_fma_f16 v38, v50, s8, v38
	v_fma_f16 v41, v41, s8, v42
	v_mul_f16_e32 v26, 0xb8b4, v24
	v_fma_f16 v28, v19, s8, v28
	v_fma_f16 v34, v21, s14, v34
	;; [unrolled: 1-line block ×4, first 2 shown]
	v_mul_f16_e32 v20, 0x38b4, v23
	v_add_f16_e32 v8, v9, v8
	v_fma_f16 v44, v27, s8, v44
	v_fma_f16 v45, v31, s8, v45
	v_mul_f16_e32 v53, 0x34f2, v52
	v_mul_f16_e32 v42, 0xbb9c, v41
	v_fma_f16 v26, v23, s15, v26
	v_fma_f16 v34, v32, s8, v34
	v_mul_f16_e32 v35, 0x34f2, v49
	v_fma_f16 v32, v32, s8, v33
	v_mul_f16_e32 v33, 0x3b9c, v38
	v_fma_f16 v20, v24, s15, v20
	v_add_f16_e32 v8, v8, v10
	v_mul_f16_e32 v47, 0x3a79, v45
	v_fma_f16 v53, v49, s9, -v53
	v_fma_f16 v42, v38, s8, v42
	v_mul_f16_e32 v30, 0x3a79, v44
	v_fma_f16 v35, v52, s6, -v35
	v_fma_f16 v33, v41, s8, v33
	v_sub_f16_e32 v21, v19, v20
	v_sub_f16_e32 v9, v7, v8
	v_add_f16_e32 v13, v22, v26
	v_add_f16_e32 v14, v25, v17
	;; [unrolled: 1-line block ×4, first 2 shown]
	v_fma_f16 v47, v44, s14, -v47
	v_sub_f16_e32 v18, v25, v17
	v_fma_f16 v30, v45, s7, -v30
	v_add_f16_e32 v11, v46, v53
	v_add_f16_e32 v12, v37, v42
	;; [unrolled: 1-line block ×4, first 2 shown]
	v_pack_b32_f16 v7, v7, v14
	v_pack_b32_f16 v8, v19, v13
	v_add_u32_e32 v13, 0x100, v4
	v_add_f16_e32 v10, v43, v47
	v_add_f16_e32 v15, v28, v30
	ds_write2_b32 v13, v7, v8 offset0:36 offset1:196
	v_pack_b32_f16 v7, v17, v12
	v_pack_b32_f16 v8, v16, v11
	v_add_u32_e32 v11, 0x600, v4
	v_sub_f16_e32 v50, v37, v42
	v_sub_f16_e32 v27, v22, v26
	;; [unrolled: 1-line block ×3, first 2 shown]
	ds_write2_b32 v11, v7, v8 offset0:36 offset1:196
	v_pack_b32_f16 v7, v15, v10
	v_pack_b32_f16 v8, v9, v18
	v_add_u32_e32 v9, 0xb00, v4
	v_sub_f16_e32 v48, v43, v47
	v_sub_f16_e32 v54, v46, v53
	;; [unrolled: 1-line block ×4, first 2 shown]
	ds_write2_b32 v9, v7, v8 offset0:36 offset1:196
	v_pack_b32_f16 v7, v21, v27
	v_pack_b32_f16 v8, v38, v50
	v_add_u32_e32 v9, 0x1000, v4
	ds_write2_b32 v9, v7, v8 offset0:36 offset1:196
	v_pack_b32_f16 v7, v36, v54
	v_pack_b32_f16 v8, v31, v48
	v_add_u32_e32 v4, 0x1500, v4
	ds_write2_b32 v4, v7, v8 offset0:36 offset1:196
.LBB0_25:
	s_or_b64 exec, exec, s[4:5]
	s_waitcnt lgkmcnt(0)
	s_barrier
	s_and_saveexec_b64 s[4:5], s[0:1]
	s_cbranch_execz .LBB0_27
; %bb.26:
	v_mul_lo_u32 v4, s3, v5
	v_mul_lo_u32 v7, s2, v6
	v_mad_u64_u32 v[5:6], s[0:1], s2, v5, 0
	v_lshl_add_u32 v9, v3, 2, v0
	v_mov_b32_e32 v0, s11
	v_add3_u32 v6, v6, v7, v4
	v_lshlrev_b64 v[5:6], 2, v[5:6]
	v_mov_b32_e32 v4, 0
	v_add_co_u32_e32 v5, vcc, s10, v5
	v_addc_co_u32_e32 v6, vcc, v0, v6, vcc
	v_lshlrev_b64 v[0:1], 2, v[1:2]
	ds_read2_b32 v[7:8], v9 offset1:100
	v_add_co_u32_e32 v2, vcc, v5, v0
	v_addc_co_u32_e32 v10, vcc, v6, v1, vcc
	v_lshlrev_b64 v[0:1], 2, v[3:4]
	v_add_u32_e32 v5, 0x200, v9
	v_add_co_u32_e32 v0, vcc, v2, v0
	v_addc_co_u32_e32 v1, vcc, v10, v1, vcc
	s_waitcnt lgkmcnt(0)
	global_store_dword v[0:1], v7, off
	v_add_u32_e32 v0, 0x64, v3
	v_mov_b32_e32 v1, v4
	v_lshlrev_b64 v[0:1], 2, v[0:1]
	ds_read2_b32 v[5:6], v5 offset0:72 offset1:172
	v_add_co_u32_e32 v0, vcc, v2, v0
	v_addc_co_u32_e32 v1, vcc, v10, v1, vcc
	global_store_dword v[0:1], v8, off
	v_add_u32_e32 v0, 0xc8, v3
	v_mov_b32_e32 v1, v4
	v_lshlrev_b64 v[0:1], 2, v[0:1]
	v_add_co_u32_e32 v0, vcc, v2, v0
	v_addc_co_u32_e32 v1, vcc, v10, v1, vcc
	s_waitcnt lgkmcnt(0)
	global_store_dword v[0:1], v5, off
	v_add_u32_e32 v0, 0x12c, v3
	v_mov_b32_e32 v1, v4
	v_lshlrev_b64 v[0:1], 2, v[0:1]
	v_add_u32_e32 v5, 0x400, v9
	v_add_co_u32_e32 v0, vcc, v2, v0
	v_addc_co_u32_e32 v1, vcc, v10, v1, vcc
	global_store_dword v[0:1], v6, off
	v_add_u32_e32 v0, 0x190, v3
	v_mov_b32_e32 v1, v4
	ds_read2_b32 v[5:6], v5 offset0:144 offset1:244
	v_lshlrev_b64 v[0:1], 2, v[0:1]
	v_add_co_u32_e32 v0, vcc, v2, v0
	v_addc_co_u32_e32 v1, vcc, v10, v1, vcc
	s_waitcnt lgkmcnt(0)
	global_store_dword v[0:1], v5, off
	v_add_u32_e32 v0, 0x1f4, v3
	v_mov_b32_e32 v1, v4
	v_lshlrev_b64 v[0:1], 2, v[0:1]
	v_add_u32_e32 v5, 0x800, v9
	v_add_co_u32_e32 v0, vcc, v2, v0
	v_addc_co_u32_e32 v1, vcc, v10, v1, vcc
	global_store_dword v[0:1], v6, off
	v_add_u32_e32 v0, 0x258, v3
	v_mov_b32_e32 v1, v4
	ds_read2_b32 v[5:6], v5 offset0:88 offset1:188
	;; [unrolled: 15-line block ×6, first 2 shown]
	v_lshlrev_b64 v[0:1], 2, v[0:1]
	v_add_u32_e32 v3, 0x5dc, v3
	v_add_co_u32_e32 v0, vcc, v2, v0
	v_addc_co_u32_e32 v1, vcc, v10, v1, vcc
	s_waitcnt lgkmcnt(0)
	global_store_dword v[0:1], v5, off
	v_lshlrev_b64 v[0:1], 2, v[3:4]
	v_add_co_u32_e32 v0, vcc, v2, v0
	v_addc_co_u32_e32 v1, vcc, v10, v1, vcc
	global_store_dword v[0:1], v6, off
.LBB0_27:
	s_endpgm
	.section	.rodata,"a",@progbits
	.p2align	6, 0x0
	.amdhsa_kernel fft_rtc_fwd_len1600_factors_10_16_10_wgs_200_tpt_100_halfLds_half_op_CI_CI_unitstride_sbrr_C2R_dirReg
		.amdhsa_group_segment_fixed_size 0
		.amdhsa_private_segment_fixed_size 0
		.amdhsa_kernarg_size 104
		.amdhsa_user_sgpr_count 6
		.amdhsa_user_sgpr_private_segment_buffer 1
		.amdhsa_user_sgpr_dispatch_ptr 0
		.amdhsa_user_sgpr_queue_ptr 0
		.amdhsa_user_sgpr_kernarg_segment_ptr 1
		.amdhsa_user_sgpr_dispatch_id 0
		.amdhsa_user_sgpr_flat_scratch_init 0
		.amdhsa_user_sgpr_private_segment_size 0
		.amdhsa_uses_dynamic_stack 0
		.amdhsa_system_sgpr_private_segment_wavefront_offset 0
		.amdhsa_system_sgpr_workgroup_id_x 1
		.amdhsa_system_sgpr_workgroup_id_y 0
		.amdhsa_system_sgpr_workgroup_id_z 0
		.amdhsa_system_sgpr_workgroup_info 0
		.amdhsa_system_vgpr_workitem_id 0
		.amdhsa_next_free_vgpr 63
		.amdhsa_next_free_sgpr 28
		.amdhsa_reserve_vcc 1
		.amdhsa_reserve_flat_scratch 0
		.amdhsa_float_round_mode_32 0
		.amdhsa_float_round_mode_16_64 0
		.amdhsa_float_denorm_mode_32 3
		.amdhsa_float_denorm_mode_16_64 3
		.amdhsa_dx10_clamp 1
		.amdhsa_ieee_mode 1
		.amdhsa_fp16_overflow 0
		.amdhsa_exception_fp_ieee_invalid_op 0
		.amdhsa_exception_fp_denorm_src 0
		.amdhsa_exception_fp_ieee_div_zero 0
		.amdhsa_exception_fp_ieee_overflow 0
		.amdhsa_exception_fp_ieee_underflow 0
		.amdhsa_exception_fp_ieee_inexact 0
		.amdhsa_exception_int_div_zero 0
	.end_amdhsa_kernel
	.text
.Lfunc_end0:
	.size	fft_rtc_fwd_len1600_factors_10_16_10_wgs_200_tpt_100_halfLds_half_op_CI_CI_unitstride_sbrr_C2R_dirReg, .Lfunc_end0-fft_rtc_fwd_len1600_factors_10_16_10_wgs_200_tpt_100_halfLds_half_op_CI_CI_unitstride_sbrr_C2R_dirReg
                                        ; -- End function
	.section	.AMDGPU.csdata,"",@progbits
; Kernel info:
; codeLenInByte = 11484
; NumSgprs: 32
; NumVgprs: 63
; ScratchSize: 0
; MemoryBound: 0
; FloatMode: 240
; IeeeMode: 1
; LDSByteSize: 0 bytes/workgroup (compile time only)
; SGPRBlocks: 3
; VGPRBlocks: 15
; NumSGPRsForWavesPerEU: 32
; NumVGPRsForWavesPerEU: 63
; Occupancy: 4
; WaveLimiterHint : 1
; COMPUTE_PGM_RSRC2:SCRATCH_EN: 0
; COMPUTE_PGM_RSRC2:USER_SGPR: 6
; COMPUTE_PGM_RSRC2:TRAP_HANDLER: 0
; COMPUTE_PGM_RSRC2:TGID_X_EN: 1
; COMPUTE_PGM_RSRC2:TGID_Y_EN: 0
; COMPUTE_PGM_RSRC2:TGID_Z_EN: 0
; COMPUTE_PGM_RSRC2:TIDIG_COMP_CNT: 0
	.type	__hip_cuid_8a710d84bd354dc2,@object ; @__hip_cuid_8a710d84bd354dc2
	.section	.bss,"aw",@nobits
	.globl	__hip_cuid_8a710d84bd354dc2
__hip_cuid_8a710d84bd354dc2:
	.byte	0                               ; 0x0
	.size	__hip_cuid_8a710d84bd354dc2, 1

	.ident	"AMD clang version 19.0.0git (https://github.com/RadeonOpenCompute/llvm-project roc-6.4.0 25133 c7fe45cf4b819c5991fe208aaa96edf142730f1d)"
	.section	".note.GNU-stack","",@progbits
	.addrsig
	.addrsig_sym __hip_cuid_8a710d84bd354dc2
	.amdgpu_metadata
---
amdhsa.kernels:
  - .args:
      - .actual_access:  read_only
        .address_space:  global
        .offset:         0
        .size:           8
        .value_kind:     global_buffer
      - .offset:         8
        .size:           8
        .value_kind:     by_value
      - .actual_access:  read_only
        .address_space:  global
        .offset:         16
        .size:           8
        .value_kind:     global_buffer
      - .actual_access:  read_only
        .address_space:  global
        .offset:         24
        .size:           8
        .value_kind:     global_buffer
      - .actual_access:  read_only
        .address_space:  global
        .offset:         32
        .size:           8
        .value_kind:     global_buffer
      - .offset:         40
        .size:           8
        .value_kind:     by_value
      - .actual_access:  read_only
        .address_space:  global
        .offset:         48
        .size:           8
        .value_kind:     global_buffer
      - .actual_access:  read_only
        .address_space:  global
        .offset:         56
        .size:           8
        .value_kind:     global_buffer
      - .offset:         64
        .size:           4
        .value_kind:     by_value
      - .actual_access:  read_only
        .address_space:  global
        .offset:         72
        .size:           8
        .value_kind:     global_buffer
      - .actual_access:  read_only
        .address_space:  global
        .offset:         80
        .size:           8
        .value_kind:     global_buffer
      - .actual_access:  read_only
        .address_space:  global
        .offset:         88
        .size:           8
        .value_kind:     global_buffer
      - .actual_access:  write_only
        .address_space:  global
        .offset:         96
        .size:           8
        .value_kind:     global_buffer
    .group_segment_fixed_size: 0
    .kernarg_segment_align: 8
    .kernarg_segment_size: 104
    .language:       OpenCL C
    .language_version:
      - 2
      - 0
    .max_flat_workgroup_size: 200
    .name:           fft_rtc_fwd_len1600_factors_10_16_10_wgs_200_tpt_100_halfLds_half_op_CI_CI_unitstride_sbrr_C2R_dirReg
    .private_segment_fixed_size: 0
    .sgpr_count:     32
    .sgpr_spill_count: 0
    .symbol:         fft_rtc_fwd_len1600_factors_10_16_10_wgs_200_tpt_100_halfLds_half_op_CI_CI_unitstride_sbrr_C2R_dirReg.kd
    .uniform_work_group_size: 1
    .uses_dynamic_stack: false
    .vgpr_count:     63
    .vgpr_spill_count: 0
    .wavefront_size: 64
amdhsa.target:   amdgcn-amd-amdhsa--gfx906
amdhsa.version:
  - 1
  - 2
...

	.end_amdgpu_metadata
